;; amdgpu-corpus repo=zjin-lcf/HeCBench kind=compiled arch=gfx1250 opt=O3
	.amdgcn_target "amdgcn-amd-amdhsa--gfx1250"
	.amdhsa_code_object_version 6
	.text
	.protected	_Z6cmpfhdPKfS0_PfS1_S0_S0_S0_ii ; -- Begin function _Z6cmpfhdPKfS0_PfS1_S0_S0_S0_ii
	.globl	_Z6cmpfhdPKfS0_PfS1_S0_S0_S0_ii
	.p2align	8
	.type	_Z6cmpfhdPKfS0_PfS1_S0_S0_S0_ii,@function
_Z6cmpfhdPKfS0_PfS1_S0_S0_S0_ii:        ; @_Z6cmpfhdPKfS0_PfS1_S0_S0_S0_ii
; %bb.0:
	s_clause 0x1
	s_load_b32 s2, s[0:1], 0x4c
	s_load_b64 s[8:9], s[0:1], 0x38
	s_bfe_u32 s3, ttmp6, 0x4000c
	s_and_b32 s4, ttmp6, 15
	s_add_co_i32 s3, s3, 1
	s_getreg_b32 s5, hwreg(HW_REG_IB_STS2, 6, 4)
	s_mul_i32 s3, ttmp9, s3
	s_delay_alu instid0(SALU_CYCLE_1) | instskip(SKIP_4) | instid1(SALU_CYCLE_1)
	s_add_co_i32 s4, s4, s3
	s_wait_kmcnt 0x0
	s_and_b32 s2, s2, 0xffff
	s_cmp_eq_u32 s5, 0
	s_cselect_b32 s3, ttmp9, s4
	v_mad_u32 v2, s3, s2, v0
	s_mov_b32 s2, exec_lo
	s_delay_alu instid0(VALU_DEP_1)
	v_cmpx_gt_i32_e64 s8, v2
	s_cbranch_execz .LBB0_5
; %bb.1:
	s_load_b128 s[4:7], s[0:1], 0x10
	v_ashrrev_i32_e32 v3, 31, v2
	s_cmp_lt_i32 s9, 1
	s_wait_kmcnt 0x0
	s_clause 0x1
	global_load_b32 v1, v2, s[4:5] scale_offset
	global_load_b32 v0, v2, s[6:7] scale_offset
	s_wait_xcnt 0x0
	v_lshlrev_b64_e32 v[2:3], 2, v[2:3]
	s_cbranch_scc1 .LBB0_4
; %bb.2:
	s_clause 0x1
	s_load_b128 s[12:15], s[0:1], 0x20
	s_load_b64 s[2:3], s[0:1], 0x30
	s_get_pc_i64 s[10:11]
	s_add_nc_u64 s[10:11], s[10:11], k@rel64+4
	s_wait_kmcnt 0x0
	v_add_nc_u64_e32 v[8:9], s[12:13], v[2:3]
	v_add_nc_u64_e32 v[10:11], s[14:15], v[2:3]
	;; [unrolled: 1-line block ×3, first 2 shown]
	s_load_b128 s[0:3], s[0:1], 0x0
	global_load_b32 v6, v[8:9], off
	global_load_b32 v4, v[10:11], off
	;; [unrolled: 1-line block ×3, first 2 shown]
.LBB0_3:                                ; =>This Inner Loop Header: Depth=1
	s_load_b96 s[12:14], s[10:11], 0x0
	s_wait_kmcnt 0x0
	s_load_b32 s8, s[2:3], 0x0
	s_add_nc_u64 s[10:11], s[10:11], 12
	s_wait_xcnt 0x0
	s_add_nc_u64 s[2:3], s[2:3], 4
	v_dual_mov_b32 v8, s13 :: v_dual_mov_b32 v9, s14
	s_load_b32 s13, s[0:1], 0x0
	s_wait_xcnt 0x0
	s_add_nc_u64 s[0:1], s[0:1], 4
	s_wait_kmcnt 0x0
	v_mov_b32_e32 v13, s8
	s_wait_loadcnt 0x0
	v_pk_mul_f32 v[8:9], v[4:5], v[8:9]
	s_delay_alu instid0(VALU_DEP_1) | instskip(NEXT) | instid1(VALU_DEP_1)
	v_dual_fma_f32 v7, s12, v6, v8 :: v_dual_mov_b32 v8, s8
	v_add_f32_e32 v7, v7, v9
	s_delay_alu instid0(VALU_DEP_1) | instskip(NEXT) | instid1(VALU_DEP_1)
	v_dual_mul_f32 v7, 0x40c90fdb, v7 :: v_dual_mov_b32 v12, s13
	v_dual_mov_b32 v9, s13 :: v_dual_mul_f32 v7, 0.15915494, v7
	s_delay_alu instid0(VALU_DEP_1) | instskip(SKIP_1) | instid1(TRANS32_DEP_2)
	v_sin_f32_e32 v10, v7
	v_cos_f32_e32 v14, v7
	v_pk_mul_f32 v[10:11], v[12:13], v[10:11] op_sel_hi:[1,0]
	v_mov_b64_e32 v[12:13], s[8:9]
	s_add_co_i32 s9, s9, -1
	s_delay_alu instid0(SALU_CYCLE_1)
	s_cmp_eq_u32 s9, 0
	s_delay_alu instid0(TRANS32_DEP_1) | instid1(VALU_DEP_2)
	v_pk_fma_f32 v[8:9], v[8:9], v[14:15], v[10:11] op_sel_hi:[1,0,1] neg_lo:[0,0,1] neg_hi:[0,0,1]
	s_delay_alu instid0(VALU_DEP_2) | instskip(NEXT) | instid1(VALU_DEP_2)
	v_pk_fma_f32 v[10:11], v[12:13], v[14:15], v[10:11]
	v_mov_b32_e32 v11, v9
	s_delay_alu instid0(VALU_DEP_1)
	v_pk_add_f32 v[0:1], v[0:1], v[10:11]
	s_cbranch_scc0 .LBB0_3
.LBB0_4:
	s_delay_alu instid0(VALU_DEP_1)
	v_add_nc_u64_e32 v[4:5], s[4:5], v[2:3]
	v_add_nc_u64_e32 v[2:3], s[6:7], v[2:3]
	s_wait_loadcnt 0x1
	global_store_b32 v[4:5], v1, off
	s_wait_loadcnt 0x0
	global_store_b32 v[2:3], v0, off
.LBB0_5:
	s_endpgm
	.section	.rodata,"a",@progbits
	.p2align	6, 0x0
	.amdhsa_kernel _Z6cmpfhdPKfS0_PfS1_S0_S0_S0_ii
		.amdhsa_group_segment_fixed_size 0
		.amdhsa_private_segment_fixed_size 0
		.amdhsa_kernarg_size 320
		.amdhsa_user_sgpr_count 2
		.amdhsa_user_sgpr_dispatch_ptr 0
		.amdhsa_user_sgpr_queue_ptr 0
		.amdhsa_user_sgpr_kernarg_segment_ptr 1
		.amdhsa_user_sgpr_dispatch_id 0
		.amdhsa_user_sgpr_kernarg_preload_length 0
		.amdhsa_user_sgpr_kernarg_preload_offset 0
		.amdhsa_user_sgpr_private_segment_size 0
		.amdhsa_wavefront_size32 1
		.amdhsa_uses_dynamic_stack 0
		.amdhsa_enable_private_segment 0
		.amdhsa_system_sgpr_workgroup_id_x 1
		.amdhsa_system_sgpr_workgroup_id_y 0
		.amdhsa_system_sgpr_workgroup_id_z 0
		.amdhsa_system_sgpr_workgroup_info 0
		.amdhsa_system_vgpr_workitem_id 0
		.amdhsa_next_free_vgpr 16
		.amdhsa_next_free_sgpr 16
		.amdhsa_named_barrier_count 0
		.amdhsa_reserve_vcc 0
		.amdhsa_float_round_mode_32 0
		.amdhsa_float_round_mode_16_64 0
		.amdhsa_float_denorm_mode_32 3
		.amdhsa_float_denorm_mode_16_64 3
		.amdhsa_fp16_overflow 0
		.amdhsa_memory_ordered 1
		.amdhsa_forward_progress 1
		.amdhsa_inst_pref_size 4
		.amdhsa_round_robin_scheduling 0
		.amdhsa_exception_fp_ieee_invalid_op 0
		.amdhsa_exception_fp_denorm_src 0
		.amdhsa_exception_fp_ieee_div_zero 0
		.amdhsa_exception_fp_ieee_overflow 0
		.amdhsa_exception_fp_ieee_underflow 0
		.amdhsa_exception_fp_ieee_inexact 0
		.amdhsa_exception_int_div_zero 0
	.end_amdhsa_kernel
	.text
.Lfunc_end0:
	.size	_Z6cmpfhdPKfS0_PfS1_S0_S0_S0_ii, .Lfunc_end0-_Z6cmpfhdPKfS0_PfS1_S0_S0_S0_ii
                                        ; -- End function
	.set _Z6cmpfhdPKfS0_PfS1_S0_S0_S0_ii.num_vgpr, 16
	.set _Z6cmpfhdPKfS0_PfS1_S0_S0_S0_ii.num_agpr, 0
	.set _Z6cmpfhdPKfS0_PfS1_S0_S0_S0_ii.numbered_sgpr, 16
	.set _Z6cmpfhdPKfS0_PfS1_S0_S0_S0_ii.num_named_barrier, 0
	.set _Z6cmpfhdPKfS0_PfS1_S0_S0_S0_ii.private_seg_size, 0
	.set _Z6cmpfhdPKfS0_PfS1_S0_S0_S0_ii.uses_vcc, 0
	.set _Z6cmpfhdPKfS0_PfS1_S0_S0_S0_ii.uses_flat_scratch, 0
	.set _Z6cmpfhdPKfS0_PfS1_S0_S0_S0_ii.has_dyn_sized_stack, 0
	.set _Z6cmpfhdPKfS0_PfS1_S0_S0_S0_ii.has_recursion, 0
	.set _Z6cmpfhdPKfS0_PfS1_S0_S0_S0_ii.has_indirect_call, 0
	.section	.AMDGPU.csdata,"",@progbits
; Kernel info:
; codeLenInByte = 508
; TotalNumSgprs: 16
; NumVgprs: 16
; ScratchSize: 0
; MemoryBound: 0
; FloatMode: 240
; IeeeMode: 1
; LDSByteSize: 0 bytes/workgroup (compile time only)
; SGPRBlocks: 0
; VGPRBlocks: 0
; NumSGPRsForWavesPerEU: 16
; NumVGPRsForWavesPerEU: 16
; NamedBarCnt: 0
; Occupancy: 16
; WaveLimiterHint : 0
; COMPUTE_PGM_RSRC2:SCRATCH_EN: 0
; COMPUTE_PGM_RSRC2:USER_SGPR: 2
; COMPUTE_PGM_RSRC2:TRAP_HANDLER: 0
; COMPUTE_PGM_RSRC2:TGID_X_EN: 1
; COMPUTE_PGM_RSRC2:TGID_Y_EN: 0
; COMPUTE_PGM_RSRC2:TGID_Z_EN: 0
; COMPUTE_PGM_RSRC2:TIDIG_COMP_CNT: 0
	.text
	.p2alignl 7, 3214868480
	.fill 96, 4, 3214868480
	.section	.AMDGPU.gpr_maximums,"",@progbits
	.set amdgpu.max_num_vgpr, 0
	.set amdgpu.max_num_agpr, 0
	.set amdgpu.max_num_sgpr, 0
	.text
	.protected	k                       ; @k
	.type	k,@object
	.section	.rodata,"a",@progbits
	.globl	k
	.p2align	4, 0x0
k:
	.zero	49152
	.size	k, 49152

	.type	__hip_cuid_2c62b9c7a5ccd632,@object ; @__hip_cuid_2c62b9c7a5ccd632
	.section	.bss,"aw",@nobits
	.globl	__hip_cuid_2c62b9c7a5ccd632
__hip_cuid_2c62b9c7a5ccd632:
	.byte	0                               ; 0x0
	.size	__hip_cuid_2c62b9c7a5ccd632, 1

	.ident	"AMD clang version 22.0.0git (https://github.com/RadeonOpenCompute/llvm-project roc-7.2.4 26084 f58b06dce1f9c15707c5f808fd002e18c2accf7e)"
	.section	".note.GNU-stack","",@progbits
	.addrsig
	.addrsig_sym k
	.addrsig_sym __hip_cuid_2c62b9c7a5ccd632
	.amdgpu_metadata
---
amdhsa.kernels:
  - .args:
      - .actual_access:  read_only
        .address_space:  global
        .offset:         0
        .size:           8
        .value_kind:     global_buffer
      - .actual_access:  read_only
        .address_space:  global
        .offset:         8
        .size:           8
        .value_kind:     global_buffer
      - .address_space:  global
        .offset:         16
        .size:           8
        .value_kind:     global_buffer
      - .address_space:  global
        .offset:         24
        .size:           8
        .value_kind:     global_buffer
      - .actual_access:  read_only
        .address_space:  global
        .offset:         32
        .size:           8
        .value_kind:     global_buffer
      - .actual_access:  read_only
        .address_space:  global
        .offset:         40
        .size:           8
        .value_kind:     global_buffer
      - .actual_access:  read_only
        .address_space:  global
        .offset:         48
        .size:           8
        .value_kind:     global_buffer
      - .offset:         56
        .size:           4
        .value_kind:     by_value
      - .offset:         60
        .size:           4
        .value_kind:     by_value
      - .offset:         64
        .size:           4
        .value_kind:     hidden_block_count_x
      - .offset:         68
        .size:           4
        .value_kind:     hidden_block_count_y
      - .offset:         72
        .size:           4
        .value_kind:     hidden_block_count_z
      - .offset:         76
        .size:           2
        .value_kind:     hidden_group_size_x
      - .offset:         78
        .size:           2
        .value_kind:     hidden_group_size_y
      - .offset:         80
        .size:           2
        .value_kind:     hidden_group_size_z
      - .offset:         82
        .size:           2
        .value_kind:     hidden_remainder_x
      - .offset:         84
        .size:           2
        .value_kind:     hidden_remainder_y
      - .offset:         86
        .size:           2
        .value_kind:     hidden_remainder_z
      - .offset:         104
        .size:           8
        .value_kind:     hidden_global_offset_x
      - .offset:         112
        .size:           8
        .value_kind:     hidden_global_offset_y
      - .offset:         120
        .size:           8
        .value_kind:     hidden_global_offset_z
      - .offset:         128
        .size:           2
        .value_kind:     hidden_grid_dims
    .group_segment_fixed_size: 0
    .kernarg_segment_align: 8
    .kernarg_segment_size: 320
    .language:       OpenCL C
    .language_version:
      - 2
      - 0
    .max_flat_workgroup_size: 1024
    .name:           _Z6cmpfhdPKfS0_PfS1_S0_S0_S0_ii
    .private_segment_fixed_size: 0
    .sgpr_count:     16
    .sgpr_spill_count: 0
    .symbol:         _Z6cmpfhdPKfS0_PfS1_S0_S0_S0_ii.kd
    .uniform_work_group_size: 1
    .uses_dynamic_stack: false
    .vgpr_count:     16
    .vgpr_spill_count: 0
    .wavefront_size: 32
amdhsa.target:   amdgcn-amd-amdhsa--gfx1250
amdhsa.version:
  - 1
  - 2
...

	.end_amdgpu_metadata
